;; amdgpu-corpus repo=ROCm/rocFFT kind=compiled arch=gfx906 opt=O3
	.text
	.amdgcn_target "amdgcn-amd-amdhsa--gfx906"
	.amdhsa_code_object_version 6
	.protected	fft_rtc_back_len200_factors_5_8_5_wgs_400_tpt_40_sp_op_CI_CI_sbcc_twdbase6_3step_dirReg ; -- Begin function fft_rtc_back_len200_factors_5_8_5_wgs_400_tpt_40_sp_op_CI_CI_sbcc_twdbase6_3step_dirReg
	.globl	fft_rtc_back_len200_factors_5_8_5_wgs_400_tpt_40_sp_op_CI_CI_sbcc_twdbase6_3step_dirReg
	.p2align	8
	.type	fft_rtc_back_len200_factors_5_8_5_wgs_400_tpt_40_sp_op_CI_CI_sbcc_twdbase6_3step_dirReg,@function
fft_rtc_back_len200_factors_5_8_5_wgs_400_tpt_40_sp_op_CI_CI_sbcc_twdbase6_3step_dirReg: ; @fft_rtc_back_len200_factors_5_8_5_wgs_400_tpt_40_sp_op_CI_CI_sbcc_twdbase6_3step_dirReg
; %bb.0:
	s_load_dwordx8 s[8:15], s[4:5], 0x8
	s_load_dwordx2 s[30:31], s[4:5], 0x28
	s_movk_i32 s0, 0xc0
	v_cmp_gt_u32_e32 vcc, s0, v0
	s_and_saveexec_b64 s[0:1], vcc
	s_cbranch_execz .LBB0_2
; %bb.1:
	v_lshlrev_b32_e32 v3, 3, v0
	s_waitcnt lgkmcnt(0)
	global_load_dwordx2 v[1:2], v3, s[8:9]
	v_add_u32_e32 v3, 0, v3
	s_waitcnt vmcnt(0)
	ds_write_b64 v3, v[1:2] offset:16000
.LBB0_2:
	s_or_b64 exec, exec, s[0:1]
	s_waitcnt lgkmcnt(0)
	s_load_dwordx2 s[34:35], s[12:13], 0x8
	s_mov_b32 s7, 0
	s_waitcnt lgkmcnt(0)
	s_add_u32 s0, s34, -1
	s_addc_u32 s1, s35, -1
	s_add_u32 s2, 0, 0x99986000
	s_addc_u32 s3, 0, 0x59
	s_mul_hi_u32 s9, s2, -10
	s_add_i32 s3, s3, 0x19999940
	s_sub_i32 s9, s9, s2
	s_mul_i32 s18, s3, -10
	s_mul_i32 s8, s2, -10
	s_add_i32 s9, s9, s18
	s_mul_hi_u32 s16, s3, s8
	s_mul_i32 s17, s3, s8
	s_mul_i32 s19, s2, s9
	s_mul_hi_u32 s8, s2, s8
	s_mul_hi_u32 s18, s2, s9
	s_add_u32 s8, s8, s19
	s_addc_u32 s18, 0, s18
	s_add_u32 s8, s8, s17
	s_mul_hi_u32 s19, s3, s9
	s_addc_u32 s8, s18, s16
	s_addc_u32 s16, s19, 0
	s_mul_i32 s9, s3, s9
	s_add_u32 s8, s8, s9
	v_mov_b32_e32 v1, s8
	s_addc_u32 s9, 0, s16
	v_add_co_u32_e32 v1, vcc, s2, v1
	s_cmp_lg_u64 vcc, 0
	s_addc_u32 s2, s3, s9
	v_readfirstlane_b32 s9, v1
	s_mul_i32 s8, s0, s2
	s_mul_hi_u32 s16, s0, s9
	s_mul_hi_u32 s3, s0, s2
	s_add_u32 s8, s16, s8
	s_addc_u32 s3, 0, s3
	s_mul_hi_u32 s17, s1, s9
	s_mul_i32 s9, s1, s9
	s_add_u32 s8, s8, s9
	s_mul_hi_u32 s16, s1, s2
	s_addc_u32 s3, s3, s17
	s_addc_u32 s8, s16, 0
	s_mul_i32 s2, s1, s2
	s_add_u32 s2, s3, s2
	s_addc_u32 s3, 0, s8
	s_add_u32 s8, s2, 1
	s_addc_u32 s9, s3, 0
	s_add_u32 s16, s2, 2
	s_mul_i32 s18, s3, 10
	s_mul_hi_u32 s19, s2, 10
	s_addc_u32 s17, s3, 0
	s_add_i32 s19, s19, s18
	s_mul_i32 s18, s2, 10
	v_mov_b32_e32 v1, s18
	v_sub_co_u32_e32 v1, vcc, s0, v1
	s_cmp_lg_u64 vcc, 0
	s_subb_u32 s0, s1, s19
	v_subrev_co_u32_e32 v2, vcc, 10, v1
	s_cmp_lg_u64 vcc, 0
	s_subb_u32 s1, s0, 0
	v_readfirstlane_b32 s18, v2
	s_cmp_gt_u32 s18, 9
	s_cselect_b32 s18, -1, 0
	s_cmp_eq_u32 s1, 0
	s_cselect_b32 s1, s18, -1
	s_cmp_lg_u32 s1, 0
	s_cselect_b32 s1, s16, s8
	s_cselect_b32 s8, s17, s9
	v_readfirstlane_b32 s9, v1
	s_cmp_gt_u32 s9, 9
	s_cselect_b32 s9, -1, 0
	s_cmp_eq_u32 s0, 0
	s_cselect_b32 s0, s9, -1
	s_cmp_lg_u32 s0, 0
	s_cselect_b32 s1, s1, s2
	s_cselect_b32 s0, s8, s3
	s_add_u32 s38, s1, 1
	s_addc_u32 s39, s0, 0
	v_mov_b32_e32 v1, s38
	v_mov_b32_e32 v2, s39
	v_cmp_lt_u64_e32 vcc, s[6:7], v[1:2]
	s_mov_b64 s[8:9], 0
	s_cbranch_vccnz .LBB0_4
; %bb.3:
	v_cvt_f32_u32_e32 v1, s38
	s_sub_i32 s0, 0, s38
	s_mov_b32 s9, s7
	v_rcp_iflag_f32_e32 v1, v1
	v_mul_f32_e32 v1, 0x4f7ffffe, v1
	v_cvt_u32_f32_e32 v1, v1
	v_readfirstlane_b32 s1, v1
	s_mul_i32 s0, s0, s1
	s_mul_hi_u32 s0, s1, s0
	s_add_i32 s1, s1, s0
	s_mul_hi_u32 s0, s6, s1
	s_mul_i32 s2, s0, s38
	s_sub_i32 s2, s6, s2
	s_add_i32 s1, s0, 1
	s_sub_i32 s3, s2, s38
	s_cmp_ge_u32 s2, s38
	s_cselect_b32 s0, s1, s0
	s_cselect_b32 s2, s3, s2
	s_add_i32 s1, s0, 1
	s_cmp_ge_u32 s2, s38
	s_cselect_b32 s8, s1, s0
.LBB0_4:
	s_mul_i32 s0, s8, s39
	s_mul_hi_u32 s1, s8, s38
	s_add_i32 s1, s1, s0
	s_mul_i32 s0, s8, s38
	s_load_dwordx4 s[20:23], s[4:5], 0x60
	s_load_dwordx2 s[28:29], s[4:5], 0x0
	s_load_dwordx4 s[24:27], s[14:15], 0x0
	s_load_dwordx4 s[16:19], s[30:31], 0x0
	s_sub_u32 s50, s6, s0
	s_subb_u32 s0, 0, s1
	s_mul_i32 s0, s0, 10
	s_mul_hi_u32 s33, s50, 10
	s_add_i32 s33, s33, s0
	s_mul_i32 s50, s50, 10
	s_waitcnt lgkmcnt(0)
	s_mul_i32 s0, s26, s33
	s_mul_hi_u32 s1, s26, s50
	s_add_i32 s0, s1, s0
	s_mul_i32 s1, s27, s50
	s_add_i32 s37, s0, s1
	s_mul_i32 s0, s18, s33
	s_mul_hi_u32 s1, s18, s50
	s_add_i32 s0, s1, s0
	s_mul_i32 s1, s19, s50
	s_add_i32 s3, s0, s1
	v_cmp_lt_u64_e64 s[0:1], s[10:11], 3
	s_mul_i32 s36, s26, s50
	s_mul_i32 s2, s18, s50
	s_and_b64 vcc, exec, s[0:1]
	s_cbranch_vccnz .LBB0_14
; %bb.5:
	s_add_u32 s4, s30, 16
	s_addc_u32 s5, s31, 0
	s_add_u32 s40, s14, 16
	s_addc_u32 s41, s15, 0
	s_add_u32 s12, s12, 16
	v_mov_b32_e32 v1, s10
	s_addc_u32 s13, s13, 0
	s_mov_b64 s[42:43], 2
	s_mov_b32 s44, 0
	v_mov_b32_e32 v2, s11
.LBB0_6:                                ; =>This Inner Loop Header: Depth=1
	s_load_dwordx2 s[46:47], s[12:13], 0x0
	s_waitcnt lgkmcnt(0)
	s_or_b64 s[0:1], s[8:9], s[46:47]
	s_mov_b32 s45, s1
	s_cmp_lg_u64 s[44:45], 0
	s_cbranch_scc0 .LBB0_11
; %bb.7:                                ;   in Loop: Header=BB0_6 Depth=1
	v_cvt_f32_u32_e32 v3, s46
	v_cvt_f32_u32_e32 v4, s47
	s_sub_u32 s0, 0, s46
	s_subb_u32 s1, 0, s47
	v_mac_f32_e32 v3, 0x4f800000, v4
	v_rcp_f32_e32 v3, v3
	v_mul_f32_e32 v3, 0x5f7ffffc, v3
	v_mul_f32_e32 v4, 0x2f800000, v3
	v_trunc_f32_e32 v4, v4
	v_mac_f32_e32 v3, 0xcf800000, v4
	v_cvt_u32_f32_e32 v4, v4
	v_cvt_u32_f32_e32 v3, v3
	v_readfirstlane_b32 s45, v4
	v_readfirstlane_b32 s48, v3
	s_mul_i32 s49, s0, s45
	s_mul_hi_u32 s52, s0, s48
	s_mul_i32 s51, s1, s48
	s_add_i32 s49, s52, s49
	s_mul_i32 s53, s0, s48
	s_add_i32 s49, s49, s51
	s_mul_hi_u32 s51, s48, s49
	s_mul_i32 s52, s48, s49
	s_mul_hi_u32 s48, s48, s53
	s_add_u32 s48, s48, s52
	s_addc_u32 s51, 0, s51
	s_mul_hi_u32 s54, s45, s53
	s_mul_i32 s53, s45, s53
	s_add_u32 s48, s48, s53
	s_mul_hi_u32 s52, s45, s49
	s_addc_u32 s48, s51, s54
	s_addc_u32 s51, s52, 0
	s_mul_i32 s49, s45, s49
	s_add_u32 s48, s48, s49
	s_addc_u32 s49, 0, s51
	v_add_co_u32_e32 v3, vcc, s48, v3
	s_cmp_lg_u64 vcc, 0
	s_addc_u32 s45, s45, s49
	v_readfirstlane_b32 s49, v3
	s_mul_i32 s48, s0, s45
	s_mul_hi_u32 s51, s0, s49
	s_add_i32 s48, s51, s48
	s_mul_i32 s1, s1, s49
	s_add_i32 s48, s48, s1
	s_mul_i32 s0, s0, s49
	s_mul_hi_u32 s51, s45, s0
	s_mul_i32 s52, s45, s0
	s_mul_i32 s54, s49, s48
	s_mul_hi_u32 s0, s49, s0
	s_mul_hi_u32 s53, s49, s48
	s_add_u32 s0, s0, s54
	s_addc_u32 s49, 0, s53
	s_add_u32 s0, s0, s52
	s_mul_hi_u32 s1, s45, s48
	s_addc_u32 s0, s49, s51
	s_addc_u32 s1, s1, 0
	s_mul_i32 s48, s45, s48
	s_add_u32 s0, s0, s48
	s_addc_u32 s1, 0, s1
	v_add_co_u32_e32 v3, vcc, s0, v3
	s_cmp_lg_u64 vcc, 0
	s_addc_u32 s0, s45, s1
	v_readfirstlane_b32 s48, v3
	s_mul_i32 s45, s8, s0
	s_mul_hi_u32 s49, s8, s48
	s_mul_hi_u32 s1, s8, s0
	s_add_u32 s45, s49, s45
	s_addc_u32 s1, 0, s1
	s_mul_hi_u32 s51, s9, s48
	s_mul_i32 s48, s9, s48
	s_add_u32 s45, s45, s48
	s_mul_hi_u32 s49, s9, s0
	s_addc_u32 s1, s1, s51
	s_addc_u32 s45, s49, 0
	s_mul_i32 s0, s9, s0
	s_add_u32 s48, s1, s0
	s_addc_u32 s45, 0, s45
	s_mul_i32 s0, s46, s45
	s_mul_hi_u32 s1, s46, s48
	s_add_i32 s0, s1, s0
	s_mul_i32 s1, s47, s48
	s_add_i32 s49, s0, s1
	s_mul_i32 s1, s46, s48
	v_mov_b32_e32 v3, s1
	s_sub_i32 s0, s9, s49
	v_sub_co_u32_e32 v3, vcc, s8, v3
	s_cmp_lg_u64 vcc, 0
	s_subb_u32 s51, s0, s47
	v_subrev_co_u32_e64 v4, s[0:1], s46, v3
	s_cmp_lg_u64 s[0:1], 0
	s_subb_u32 s0, s51, 0
	s_cmp_ge_u32 s0, s47
	v_readfirstlane_b32 s51, v4
	s_cselect_b32 s1, -1, 0
	s_cmp_ge_u32 s51, s46
	s_cselect_b32 s51, -1, 0
	s_cmp_eq_u32 s0, s47
	s_cselect_b32 s0, s51, s1
	s_add_u32 s1, s48, 1
	s_addc_u32 s51, s45, 0
	s_add_u32 s52, s48, 2
	s_addc_u32 s53, s45, 0
	s_cmp_lg_u32 s0, 0
	s_cselect_b32 s0, s52, s1
	s_cselect_b32 s1, s53, s51
	s_cmp_lg_u64 vcc, 0
	s_subb_u32 s49, s9, s49
	s_cmp_ge_u32 s49, s47
	v_readfirstlane_b32 s52, v3
	s_cselect_b32 s51, -1, 0
	s_cmp_ge_u32 s52, s46
	s_cselect_b32 s52, -1, 0
	s_cmp_eq_u32 s49, s47
	s_cselect_b32 s49, s52, s51
	s_cmp_lg_u32 s49, 0
	s_cselect_b32 s1, s1, s45
	s_cselect_b32 s0, s0, s48
	s_cbranch_execnz .LBB0_9
.LBB0_8:                                ;   in Loop: Header=BB0_6 Depth=1
	v_cvt_f32_u32_e32 v3, s46
	s_sub_i32 s0, 0, s46
	v_rcp_iflag_f32_e32 v3, v3
	v_mul_f32_e32 v3, 0x4f7ffffe, v3
	v_cvt_u32_f32_e32 v3, v3
	v_readfirstlane_b32 s1, v3
	s_mul_i32 s0, s0, s1
	s_mul_hi_u32 s0, s1, s0
	s_add_i32 s1, s1, s0
	s_mul_hi_u32 s0, s8, s1
	s_mul_i32 s45, s0, s46
	s_sub_i32 s45, s8, s45
	s_add_i32 s1, s0, 1
	s_sub_i32 s48, s45, s46
	s_cmp_ge_u32 s45, s46
	s_cselect_b32 s0, s1, s0
	s_cselect_b32 s45, s48, s45
	s_add_i32 s1, s0, 1
	s_cmp_ge_u32 s45, s46
	s_cselect_b32 s0, s1, s0
	s_mov_b32 s1, s44
.LBB0_9:                                ;   in Loop: Header=BB0_6 Depth=1
	s_mul_i32 s39, s46, s39
	s_mul_hi_u32 s45, s46, s38
	s_add_i32 s39, s45, s39
	s_mul_i32 s45, s47, s38
	s_add_i32 s39, s39, s45
	s_mul_i32 s45, s0, s47
	s_mul_hi_u32 s47, s0, s46
	s_load_dwordx2 s[48:49], s[40:41], 0x0
	s_add_i32 s45, s47, s45
	s_mul_i32 s47, s1, s46
	s_mul_i32 s38, s46, s38
	s_add_i32 s45, s45, s47
	s_mul_i32 s46, s0, s46
	s_sub_u32 s46, s8, s46
	s_subb_u32 s45, s9, s45
	s_waitcnt lgkmcnt(0)
	s_mul_i32 s8, s48, s45
	s_mul_hi_u32 s9, s48, s46
	s_add_i32 s47, s9, s8
	s_load_dwordx2 s[8:9], s[4:5], 0x0
	s_mul_i32 s49, s49, s46
	s_add_i32 s47, s47, s49
	s_mul_i32 s48, s48, s46
	s_add_u32 s36, s48, s36
	s_addc_u32 s37, s47, s37
	s_waitcnt lgkmcnt(0)
	s_mul_i32 s45, s8, s45
	s_mul_hi_u32 s47, s8, s46
	s_add_i32 s45, s47, s45
	s_mul_i32 s9, s9, s46
	s_add_i32 s45, s45, s9
	s_mul_i32 s8, s8, s46
	s_add_u32 s2, s8, s2
	s_addc_u32 s3, s45, s3
	s_add_u32 s42, s42, 1
	s_addc_u32 s43, s43, 0
	;; [unrolled: 2-line block ×4, first 2 shown]
	v_cmp_ge_u64_e32 vcc, s[42:43], v[1:2]
	s_add_u32 s12, s12, 8
	s_addc_u32 s13, s13, 0
	s_cbranch_vccnz .LBB0_12
; %bb.10:                               ;   in Loop: Header=BB0_6 Depth=1
	s_mov_b64 s[8:9], s[0:1]
	s_branch .LBB0_6
.LBB0_11:                               ;   in Loop: Header=BB0_6 Depth=1
                                        ; implicit-def: $sgpr0_sgpr1
	s_branch .LBB0_8
.LBB0_12:
	v_mov_b32_e32 v1, s38
	v_mov_b32_e32 v2, s39
	v_cmp_lt_u64_e32 vcc, s[6:7], v[1:2]
	s_mov_b64 s[8:9], 0
	s_cbranch_vccnz .LBB0_14
; %bb.13:
	v_cvt_f32_u32_e32 v1, s38
	s_sub_i32 s0, 0, s38
	v_rcp_iflag_f32_e32 v1, v1
	v_mul_f32_e32 v1, 0x4f7ffffe, v1
	v_cvt_u32_f32_e32 v1, v1
	v_readfirstlane_b32 s1, v1
	s_mul_i32 s0, s0, s1
	s_mul_hi_u32 s0, s1, s0
	s_add_i32 s1, s1, s0
	s_mul_hi_u32 s0, s6, s1
	s_mul_i32 s4, s0, s38
	s_sub_i32 s4, s6, s4
	s_add_i32 s1, s0, 1
	s_sub_i32 s5, s4, s38
	s_cmp_ge_u32 s4, s38
	s_cselect_b32 s0, s1, s0
	s_cselect_b32 s4, s5, s4
	s_add_i32 s1, s0, 1
	s_cmp_ge_u32 s4, s38
	s_cselect_b32 s8, s1, s0
.LBB0_14:
	s_mov_b32 s0, 0x1999999a
	v_mul_hi_u32 v21, v0, s0
	s_lshl_b64 s[10:11], s[10:11], 3
	s_add_u32 s6, s30, s10
	s_addc_u32 s7, s31, s11
	v_mul_u32_u24_e32 v1, 10, v21
	v_sub_u32_e32 v20, v0, v1
	v_mov_b32_e32 v1, s33
	v_add_co_u32_e32 v17, vcc, s50, v20
	v_addc_co_u32_e32 v18, vcc, 0, v1, vcc
	s_add_u32 s0, s50, 10
	v_mov_b32_e32 v1, s34
	s_addc_u32 s1, s33, 0
	v_mov_b32_e32 v2, s35
	v_cmp_le_u64_e32 vcc, s[0:1], v[1:2]
	v_cmp_gt_u64_e64 s[0:1], s[34:35], v[17:18]
                                        ; implicit-def: $vgpr4
                                        ; implicit-def: $vgpr12
                                        ; implicit-def: $vgpr16
                                        ; implicit-def: $vgpr14
                                        ; implicit-def: $vgpr19
	s_or_b64 s[4:5], vcc, s[0:1]
	s_and_saveexec_b64 s[0:1], s[4:5]
	s_cbranch_execz .LBB0_16
; %bb.15:
	s_add_u32 s10, s14, s10
	s_addc_u32 s11, s15, s11
	s_load_dwordx2 s[10:11], s[10:11], 0x0
	v_mad_u64_u32 v[1:2], s[12:13], s26, v20, 0
	v_mad_u64_u32 v[3:4], s[12:13], s24, v21, 0
	s_waitcnt lgkmcnt(0)
	s_mul_i32 s9, s11, s8
	s_mul_hi_u32 s11, s10, s8
	s_add_i32 s11, s11, s9
	s_mul_i32 s10, s10, s8
	v_mad_u64_u32 v[5:6], s[12:13], s27, v20, v[2:3]
	v_mov_b32_e32 v2, v4
	s_lshl_b64 s[10:11], s[10:11], 3
	v_mad_u64_u32 v[6:7], s[12:13], s25, v21, v[2:3]
	s_add_u32 s9, s20, s10
	s_addc_u32 s12, s21, s11
	s_lshl_b64 s[10:11], s[36:37], 3
	s_add_u32 s9, s9, s10
	s_addc_u32 s10, s12, s11
	v_add_u32_e32 v8, 40, v21
	v_mov_b32_e32 v2, v5
	v_mov_b32_e32 v4, v6
	;; [unrolled: 1-line block ×3, first 2 shown]
	v_mad_u64_u32 v[5:6], s[10:11], s24, v8, 0
	v_lshlrev_b64 v[1:2], 3, v[1:2]
	v_add_u32_e32 v9, 0x50, v21
	v_add_co_u32_e32 v24, vcc, s9, v1
	v_addc_co_u32_e32 v25, vcc, v7, v2, vcc
	v_lshlrev_b64 v[1:2], 3, v[3:4]
	v_mov_b32_e32 v3, v6
	v_mad_u64_u32 v[3:4], s[10:11], s25, v8, v[3:4]
	v_mad_u64_u32 v[7:8], s[10:11], s24, v9, 0
	v_mov_b32_e32 v6, v3
	v_lshlrev_b64 v[3:4], 3, v[5:6]
	v_mov_b32_e32 v5, v8
	v_mad_u64_u32 v[5:6], s[10:11], s25, v9, v[5:6]
	v_add_u32_e32 v6, 0x78, v21
	v_mad_u64_u32 v[9:10], s[10:11], s24, v6, 0
	v_add_co_u32_e32 v1, vcc, v24, v1
	v_mov_b32_e32 v8, v5
	v_mov_b32_e32 v5, v10
	v_addc_co_u32_e32 v2, vcc, v25, v2, vcc
	v_mad_u64_u32 v[5:6], s[10:11], s25, v6, v[5:6]
	v_add_co_u32_e32 v18, vcc, v24, v3
	v_addc_co_u32_e32 v19, vcc, v25, v4, vcc
	v_lshlrev_b64 v[3:4], 3, v[7:8]
	v_mov_b32_e32 v10, v5
	v_add_co_u32_e32 v6, vcc, v24, v3
	v_add_u32_e32 v5, 0xa0, v21
	v_addc_co_u32_e32 v7, vcc, v25, v4, vcc
	v_lshlrev_b64 v[3:4], 3, v[9:10]
	v_mad_u64_u32 v[8:9], s[10:11], s24, v5, 0
	v_add_co_u32_e32 v22, vcc, v24, v3
	v_mov_b32_e32 v3, v9
	v_mad_u64_u32 v[9:10], s[10:11], s25, v5, v[3:4]
	v_addc_co_u32_e32 v23, vcc, v25, v4, vcc
	global_load_dwordx2 v[3:4], v[1:2], off
	global_load_dwordx2 v[11:12], v[18:19], off
	global_load_dwordx2 v[15:16], v[6:7], off
	global_load_dwordx2 v[13:14], v[22:23], off
	v_lshlrev_b64 v[1:2], 3, v[8:9]
	v_add_co_u32_e32 v1, vcc, v24, v1
	v_addc_co_u32_e32 v2, vcc, v25, v2, vcc
	global_load_dwordx2 v[18:19], v[1:2], off
.LBB0_16:
	s_or_b64 exec, exec, s[0:1]
	s_waitcnt vmcnt(3)
	v_add_f32_e32 v1, v3, v11
	s_waitcnt vmcnt(2)
	v_add_f32_e32 v1, v1, v15
	;; [unrolled: 2-line block ×4, first 2 shown]
	v_add_f32_e32 v1, v15, v13
	v_sub_f32_e32 v2, v11, v15
	v_sub_f32_e32 v6, v18, v13
	v_fma_f32 v9, -0.5, v1, v3
	v_add_f32_e32 v2, v2, v6
	v_mov_b32_e32 v7, v9
	v_sub_f32_e32 v6, v12, v19
	v_fmac_f32_e32 v7, 0xbf737871, v6
	v_sub_f32_e32 v8, v16, v14
	v_fmac_f32_e32 v9, 0x3f737871, v6
	v_fmac_f32_e32 v7, 0xbf167918, v8
	;; [unrolled: 1-line block ×3, first 2 shown]
	v_add_f32_e32 v1, v11, v18
	v_fmac_f32_e32 v7, 0x3e9e377a, v2
	v_fmac_f32_e32 v9, 0x3e9e377a, v2
	v_fmac_f32_e32 v3, -0.5, v1
	v_sub_f32_e32 v1, v15, v11
	v_sub_f32_e32 v2, v13, v18
	v_add_f32_e32 v2, v1, v2
	v_mov_b32_e32 v1, v3
	v_fmac_f32_e32 v1, 0x3f737871, v8
	v_fmac_f32_e32 v3, 0xbf737871, v8
	;; [unrolled: 1-line block ×6, first 2 shown]
	v_add_f32_e32 v2, v4, v12
	v_add_f32_e32 v2, v2, v16
	;; [unrolled: 1-line block ×5, first 2 shown]
	v_fma_f32 v10, -0.5, v2, v4
	v_sub_f32_e32 v2, v12, v16
	v_sub_f32_e32 v8, v19, v14
	v_add_f32_e32 v2, v2, v8
	v_mov_b32_e32 v8, v10
	v_sub_f32_e32 v11, v11, v18
	v_fmac_f32_e32 v8, 0x3f737871, v11
	v_sub_f32_e32 v13, v15, v13
	v_fmac_f32_e32 v10, 0xbf737871, v11
	v_fmac_f32_e32 v8, 0x3f167918, v13
	v_fmac_f32_e32 v10, 0xbf167918, v13
	v_fmac_f32_e32 v8, 0x3e9e377a, v2
	v_fmac_f32_e32 v10, 0x3e9e377a, v2
	v_add_f32_e32 v2, v12, v19
	s_load_dwordx2 s[0:1], s[6:7], 0x0
	v_fmac_f32_e32 v4, -0.5, v2
	v_mov_b32_e32 v2, v4
	v_sub_f32_e32 v15, v16, v12
	v_fmac_f32_e32 v2, 0xbf737871, v13
	v_sub_f32_e32 v12, v14, v19
	v_fmac_f32_e32 v4, 0x3f737871, v13
	s_movk_i32 s6, 0x190
	v_fmac_f32_e32 v2, 0x3f167918, v11
	v_add_f32_e32 v12, v15, v12
	v_fmac_f32_e32 v4, 0xbf167918, v11
	v_mad_u32_u24 v11, v21, s6, 0
	s_movk_i32 s6, 0xfa
	v_fmac_f32_e32 v2, 0x3e9e377a, v12
	v_fmac_f32_e32 v4, 0x3e9e377a, v12
	v_lshl_add_u32 v12, v20, 3, v11
	v_cmp_gt_u32_e32 vcc, s6, v0
	v_lshlrev_b32_e32 v18, 3, v20
	ds_write2_b64 v12, v[5:6], v[7:8] offset1:10
	ds_write2_b64 v12, v[1:2], v[3:4] offset0:20 offset1:30
	ds_write_b64 v12, v[9:10] offset:320
	s_waitcnt lgkmcnt(0)
	s_barrier
	s_waitcnt lgkmcnt(0)
                                        ; implicit-def: $vgpr16
	s_and_saveexec_b64 s[6:7], vcc
	s_cbranch_execz .LBB0_18
; %bb.17:
	v_mul_i32_i24_e32 v1, 0xfffffec0, v21
	v_add3_u32 v13, v11, v1, v18
	ds_read2_b64 v[5:8], v13 offset1:250
	v_add_u32_e32 v1, 0xf80, v13
	v_add_u32_e32 v9, 0x1f40, v13
	;; [unrolled: 1-line block ×3, first 2 shown]
	ds_read2_b64 v[1:4], v1 offset0:4 offset1:254
	ds_read2_b64 v[9:12], v9 offset1:250
	ds_read2_b64 v[13:16], v13 offset0:4 offset1:254
.LBB0_18:
	s_or_b64 exec, exec, s[6:7]
	s_waitcnt lgkmcnt(0)
	s_barrier
	s_and_saveexec_b64 s[6:7], vcc
	s_cbranch_execz .LBB0_20
; %bb.19:
	s_mov_b32 s9, 0x33333334
	v_mul_hi_u32 v19, v21, s9
	v_mov_b32_e32 v37, 40
	v_mul_u32_u24_e32 v19, 5, v19
	v_sub_u32_e32 v19, v21, v19
	v_mul_u32_u24_e32 v22, 7, v19
	v_lshlrev_b32_e32 v36, 3, v22
	global_load_dwordx2 v[34:35], v36, s[28:29] offset:48
	global_load_dwordx4 v[22:25], v36, s[28:29] offset:32
	global_load_dwordx4 v[26:29], v36, s[28:29] offset:16
	global_load_dwordx4 v[30:33], v36, s[28:29]
	v_mul_lo_u16_e32 v36, 52, v21
	v_mul_u32_u24_sdwa v36, v36, v37 dst_sel:DWORD dst_unused:UNUSED_PAD src0_sel:BYTE_1 src1_sel:DWORD
	v_or_b32_e32 v19, v36, v19
	v_mul_i32_i24_e32 v19, 0x50, v19
	v_add3_u32 v19, 0, v19, v18
	s_waitcnt vmcnt(3)
	v_mul_f32_e32 v36, v16, v35
	v_mul_f32_e32 v35, v15, v35
	s_waitcnt vmcnt(2)
	v_mul_f32_e32 v37, v14, v25
	v_fmac_f32_e32 v36, v15, v34
	v_fma_f32 v15, v16, v34, -v35
	v_mul_f32_e32 v16, v13, v25
	v_mul_f32_e32 v25, v11, v23
	v_fmac_f32_e32 v37, v13, v24
	v_fma_f32 v13, v14, v24, -v16
	v_mul_f32_e32 v14, v12, v23
	s_waitcnt vmcnt(1)
	v_mul_f32_e32 v23, v10, v29
	v_mul_f32_e32 v16, v9, v29
	;; [unrolled: 1-line block ×3, first 2 shown]
	v_fma_f32 v12, v12, v22, -v25
	v_fmac_f32_e32 v14, v11, v22
	v_mul_f32_e32 v11, v3, v27
	s_waitcnt vmcnt(0)
	v_mul_f32_e32 v22, v2, v33
	v_mul_f32_e32 v25, v1, v33
	;; [unrolled: 1-line block ×3, first 2 shown]
	v_fmac_f32_e32 v23, v9, v28
	v_mul_f32_e32 v9, v8, v31
	v_fma_f32 v10, v10, v28, -v16
	v_fmac_f32_e32 v24, v3, v26
	v_fma_f32 v3, v4, v26, -v11
	v_fmac_f32_e32 v22, v1, v32
	v_fma_f32 v1, v2, v32, -v25
	v_fma_f32 v2, v8, v30, -v27
	v_fmac_f32_e32 v9, v7, v30
	v_sub_f32_e32 v4, v6, v10
	v_sub_f32_e32 v7, v22, v37
	;; [unrolled: 1-line block ×10, first 2 shown]
	v_fma_f32 v25, v1, 2.0, -v13
	v_add_f32_e32 v13, v14, v13
	v_fma_f32 v10, v24, 2.0, -v10
	v_fma_f32 v24, v6, 2.0, -v4
	;; [unrolled: 1-line block ×6, first 2 shown]
	v_add_f32_e32 v23, v12, v11
	v_fma_f32 v9, v9, 2.0, -v12
	v_sub_f32_e32 v11, v26, v5
	v_sub_f32_e32 v5, v6, v3
	v_fma_f32 v22, v4, 2.0, -v15
	v_fma_f32 v28, v14, 2.0, -v13
	v_mov_b32_e32 v2, v15
	v_mov_b32_e32 v1, v13
	v_sub_f32_e32 v7, v24, v25
	v_sub_f32_e32 v10, v9, v10
	v_fma_f32 v25, v8, 2.0, -v16
	v_fma_f32 v27, v12, 2.0, -v23
	v_add_f32_e32 v3, v11, v5
	v_fma_f32 v12, v6, 2.0, -v5
	v_mov_b32_e32 v6, v22
	v_mov_b32_e32 v5, v28
	v_fmac_f32_e32 v2, 0x3f3504f3, v16
	v_fmac_f32_e32 v1, 0x3f3504f3, v23
	v_fma_f32 v14, v24, 2.0, -v7
	v_fma_f32 v24, v26, 2.0, -v11
	;; [unrolled: 1-line block ×3, first 2 shown]
	v_fmac_f32_e32 v6, 0xbf3504f3, v25
	v_fmac_f32_e32 v5, 0xbf3504f3, v27
	v_sub_f32_e32 v4, v7, v10
	v_fmac_f32_e32 v2, 0xbf3504f3, v23
	v_fmac_f32_e32 v1, 0x3f3504f3, v16
	v_sub_f32_e32 v10, v14, v12
	v_sub_f32_e32 v9, v24, v9
	v_fmac_f32_e32 v6, 0xbf3504f3, v27
	v_fmac_f32_e32 v5, 0x3f3504f3, v25
	v_fma_f32 v8, v7, 2.0, -v4
	v_fma_f32 v7, v11, 2.0, -v3
	;; [unrolled: 1-line block ×8, first 2 shown]
	ds_write2_b64 v19, v[13:14], v[15:16] offset1:50
	ds_write2_b64 v19, v[7:8], v[11:12] offset0:100 offset1:150
	ds_write2_b64 v19, v[9:10], v[5:6] offset0:200 offset1:250
	v_add_u32_e32 v5, 0x800, v19
	ds_write2_b64 v5, v[3:4], v[1:2] offset0:44 offset1:94
.LBB0_20:
	s_or_b64 exec, exec, s[6:7]
	s_waitcnt lgkmcnt(0)
	s_barrier
	s_and_saveexec_b64 s[6:7], s[4:5]
	s_cbranch_execz .LBB0_22
; %bb.21:
	s_mov_b32 s4, 0x6666667
	v_mul_hi_u32 v1, v21, s4
	s_movk_i32 s5, 0xffd8
	v_mul_lo_u32 v16, v17, s5
	s_add_i32 s4, 0, 0x3e80
	v_mul_u32_u24_e32 v1, 40, v1
	v_sub_u32_e32 v15, v21, v1
	v_lshlrev_b32_e32 v9, 5, v15
	global_load_dwordx4 v[5:8], v9, s[28:29] offset:280
	global_load_dwordx4 v[1:4], v9, s[28:29] offset:296
	v_add_u32_e32 v10, 0xa0, v15
	v_mul_u32_u24_e32 v9, 0x50, v21
	v_mul_lo_u32 v23, v10, v17
	v_add3_u32 v9, 0, v9, v18
	ds_read_b64 v[11:12], v9 offset:9600
	ds_read_b64 v[13:14], v9 offset:12800
	;; [unrolled: 1-line block ×4, first 2 shown]
	ds_read2_b32 v[9:10], v9 offset1:1
	v_and_b32_e32 v24, 63, v23
	v_lshrrev_b32_e32 v25, 3, v23
	v_add_u32_e32 v26, v23, v16
	v_lshrrev_b32_e32 v23, 9, v23
	v_lshl_add_u32 v27, v24, 3, 0
	v_and_b32_e32 v24, 0x1f8, v25
	v_and_b32_e32 v23, 0x1f8, v23
	v_add_u32_e32 v24, s4, v24
	v_add_u32_e32 v32, s4, v23
	ds_read_b64 v[23:24], v24 offset:512
	v_add_u32_e32 v29, v26, v16
	v_and_b32_e32 v30, 63, v29
	v_lshrrev_b32_e32 v31, 3, v29
	v_add_u32_e32 v16, v29, v16
	v_lshrrev_b32_e32 v29, 9, v29
	v_and_b32_e32 v25, 63, v26
	v_lshrrev_b32_e32 v28, 3, v26
	v_lshrrev_b32_e32 v26, 9, v26
	v_and_b32_e32 v26, 0x1f8, v26
	v_and_b32_e32 v31, 0x1f8, v31
	v_lshl_add_u32 v25, v25, 3, 0
	v_and_b32_e32 v28, 0x1f8, v28
	v_lshl_add_u32 v30, v30, 3, 0
	v_add_u32_e32 v28, s4, v28
	s_mul_i32 s1, s1, s8
	v_mul_hi_u32_u24_e32 v0, 0xa3d70b, v0
	s_waitcnt vmcnt(1) lgkmcnt(2)
	v_mul_f32_e32 v33, v6, v21
	v_mul_f32_e32 v34, v6, v22
	v_fma_f32 v33, v5, v22, -v33
	v_fmac_f32_e32 v34, v5, v21
	v_mul_f32_e32 v5, v8, v18
	v_mul_f32_e32 v35, v8, v19
	v_fma_f32 v36, v7, v19, -v5
	v_fmac_f32_e32 v35, v7, v18
	ds_read_b64 v[5:6], v27 offset:16000
	ds_read_b64 v[7:8], v32 offset:1024
	v_and_b32_e32 v18, 63, v16
	v_and_b32_e32 v19, 0x1f8, v29
	v_lshl_add_u32 v27, v18, 3, 0
	v_add_u32_e32 v18, s4, v19
	s_waitcnt vmcnt(0)
	v_mul_f32_e32 v19, v4, v13
	v_mul_f32_e32 v29, v4, v14
	;; [unrolled: 1-line block ×3, first 2 shown]
	v_add_u32_e32 v21, s4, v26
	v_add_u32_e32 v26, s4, v31
	v_fma_f32 v31, v3, v14, -v19
	v_fmac_f32_e32 v29, v3, v13
	v_mul_f32_e32 v3, v2, v11
	v_fmac_f32_e32 v32, v1, v11
	s_waitcnt lgkmcnt(1)
	v_mul_f32_e32 v11, v6, v24
	v_fma_f32 v37, v1, v12, -v3
	ds_read_b64 v[1:2], v30 offset:16000
	ds_read_b64 v[3:4], v26 offset:512
	v_fma_f32 v26, v5, v23, -v11
	ds_read_b64 v[11:12], v25 offset:16000
	ds_read_b64 v[13:14], v28 offset:512
	v_lshrrev_b32_e32 v22, 9, v16
	v_and_b32_e32 v22, 0x1f8, v22
	v_mul_f32_e32 v24, v5, v24
	v_fmac_f32_e32 v24, v6, v23
	ds_read_b64 v[5:6], v18 offset:1024
	ds_read_b64 v[18:19], v21 offset:1024
	v_add_u32_e32 v21, s4, v22
	s_waitcnt lgkmcnt(2)
	v_mul_f32_e32 v22, v12, v14
	v_mul_f32_e32 v23, v11, v14
	v_fma_f32 v25, v11, v13, -v22
	v_fmac_f32_e32 v23, v12, v13
	ds_read_b64 v[11:12], v27 offset:16000
	ds_read_b64 v[13:14], v21 offset:1024
	v_mul_f32_e32 v21, v2, v4
	v_mul_f32_e32 v27, v1, v4
	v_fma_f32 v28, v1, v3, -v21
	v_mul_lo_u32 v1, v15, v17
	v_fmac_f32_e32 v27, v2, v3
	v_lshrrev_b32_e32 v2, 3, v16
	v_and_b32_e32 v2, 0x1f8, v2
	v_add_u32_e32 v2, s4, v2
	v_lshrrev_b32_e32 v3, 9, v1
	v_and_b32_e32 v4, 63, v1
	v_lshrrev_b32_e32 v1, 3, v1
	v_lshl_add_u32 v16, v4, 3, 0
	v_and_b32_e32 v4, 0x1f8, v1
	ds_read_b64 v[1:2], v2 offset:512
	v_and_b32_e32 v3, 0x1f8, v3
	v_add_u32_e32 v3, s4, v3
	v_add_u32_e32 v21, s4, v4
	ds_read_b64 v[3:4], v3 offset:1024
	ds_read_b64 v[16:17], v16 offset:16000
	;; [unrolled: 1-line block ×3, first 2 shown]
	s_waitcnt lgkmcnt(3)
	v_mul_f32_e32 v30, v12, v2
	v_mul_f32_e32 v2, v11, v2
	v_fma_f32 v30, v11, v1, -v30
	v_fmac_f32_e32 v2, v12, v1
	v_mul_f32_e32 v1, v24, v8
	v_fma_f32 v11, v7, v26, -v1
	v_mul_f32_e32 v1, v26, v8
	v_fmac_f32_e32 v1, v7, v24
	v_mul_f32_e32 v7, v23, v19
	v_mul_f32_e32 v8, v25, v19
	v_fma_f32 v7, v18, v25, -v7
	v_fmac_f32_e32 v8, v18, v23
	v_mul_f32_e32 v12, v27, v6
	v_mul_f32_e32 v18, v28, v6
	v_fma_f32 v12, v5, v28, -v12
	;; [unrolled: 4-line block ×3, first 2 shown]
	v_fmac_f32_e32 v14, v13, v2
	v_sub_f32_e32 v2, v33, v36
	v_sub_f32_e32 v5, v31, v37
	v_add_f32_e32 v13, v2, v5
	v_sub_f32_e32 v2, v34, v35
	v_sub_f32_e32 v5, v29, v32
	v_add_f32_e32 v23, v2, v5
	v_add_f32_e32 v2, v36, v37
	v_fma_f32 v24, -0.5, v2, v10
	v_add_f32_e32 v2, v35, v32
	v_fma_f32 v27, -0.5, v2, v9
	v_sub_f32_e32 v25, v34, v29
	v_mov_b32_e32 v5, v24
	v_sub_f32_e32 v28, v33, v31
	v_mov_b32_e32 v6, v27
	v_fmac_f32_e32 v5, 0xbf737871, v25
	v_sub_f32_e32 v26, v35, v32
	v_fmac_f32_e32 v6, 0x3f737871, v28
	v_sub_f32_e32 v30, v36, v37
	v_fmac_f32_e32 v5, 0xbf167918, v26
	v_fmac_f32_e32 v6, 0x3f167918, v30
	;; [unrolled: 1-line block ×4, first 2 shown]
	v_mul_f32_e32 v2, v6, v1
	v_mul_f32_e32 v1, v5, v1
	v_fma_f32 v2, v5, v11, -v2
	v_fmac_f32_e32 v1, v6, v11
	v_sub_f32_e32 v5, v36, v33
	v_sub_f32_e32 v6, v37, v31
	v_add_f32_e32 v11, v5, v6
	v_sub_f32_e32 v5, v35, v34
	v_sub_f32_e32 v6, v32, v29
	v_add_f32_e32 v38, v5, v6
	v_add_f32_e32 v6, v34, v29
	;; [unrolled: 1-line block ×3, first 2 shown]
	v_fma_f32 v40, -0.5, v6, v9
	v_fma_f32 v39, -0.5, v5, v10
	v_mov_b32_e32 v41, v40
	v_mov_b32_e32 v5, v39
	v_fmac_f32_e32 v41, 0xbf737871, v30
	v_fmac_f32_e32 v5, 0x3f737871, v26
	;; [unrolled: 1-line block ×7, first 2 shown]
	v_mul_f32_e32 v6, v41, v8
	v_fmac_f32_e32 v39, 0xbf737871, v26
	v_fmac_f32_e32 v40, 0xbf167918, v28
	;; [unrolled: 1-line block ×4, first 2 shown]
	v_add_f32_e32 v10, v10, v33
	v_fma_f32 v6, v5, v7, -v6
	v_mul_f32_e32 v5, v5, v8
	v_fmac_f32_e32 v39, 0x3f167918, v25
	v_fmac_f32_e32 v40, 0x3e9e377a, v38
	;; [unrolled: 1-line block ×4, first 2 shown]
	v_add_f32_e32 v10, v10, v36
	v_fmac_f32_e32 v5, v41, v7
	v_fmac_f32_e32 v39, 0x3e9e377a, v11
	v_mul_f32_e32 v7, v40, v18
	v_fmac_f32_e32 v24, 0x3e9e377a, v13
	v_fmac_f32_e32 v27, 0x3e9e377a, v23
	v_add_f32_e32 v10, v10, v37
	s_waitcnt lgkmcnt(0)
	v_mul_f32_e32 v13, v16, v22
	v_add_f32_e32 v9, v34, v9
	v_fma_f32 v8, v39, v12, -v7
	v_mul_f32_e32 v7, v39, v18
	v_mul_f32_e32 v11, v27, v14
	v_add_f32_e32 v18, v10, v31
	v_mul_f32_e32 v10, v17, v22
	v_fmac_f32_e32 v13, v17, v21
	v_add_f32_e32 v9, v9, v35
	v_fmac_f32_e32 v7, v40, v12
	v_fma_f32 v12, v24, v19, -v11
	v_mul_f32_e32 v11, v24, v14
	s_mul_hi_u32 s4, s0, s8
	v_fma_f32 v10, v16, v21, -v10
	v_mul_f32_e32 v14, v13, v4
	v_add_f32_e32 v9, v9, v32
	v_fmac_f32_e32 v11, v27, v19
	s_add_i32 s1, s4, s1
	v_fma_f32 v19, v3, v10, -v14
	v_add_f32_e32 v21, v9, v29
	v_mul_f32_e32 v22, v10, v4
	v_mad_u64_u32 v[9:10], s[4:5], s18, v20, 0
	s_movk_i32 s4, 0xc8
	v_mad_u32_u24 v23, v0, s4, v15
	v_fmac_f32_e32 v22, v3, v13
	v_mad_u64_u32 v[13:14], s[4:5], s16, v23, 0
	v_mov_b32_e32 v0, v10
	v_mad_u64_u32 v[15:16], s[4:5], s19, v20, v[0:1]
	s_mul_i32 s0, s0, s8
	v_mov_b32_e32 v0, v14
	v_mad_u64_u32 v[16:17], s[4:5], s17, v23, v[0:1]
	s_lshl_b64 s[0:1], s[0:1], 3
	s_add_u32 s4, s22, s0
	v_mov_b32_e32 v10, v15
	s_addc_u32 s5, s23, s1
	s_lshl_b64 s[0:1], s[2:3], 3
	s_add_u32 s0, s4, s0
	v_lshlrev_b64 v[9:10], 3, v[9:10]
	s_addc_u32 s1, s5, s1
	v_mul_f32_e32 v3, v21, v22
	v_mov_b32_e32 v14, v16
	v_mov_b32_e32 v0, s1
	v_add_co_u32_e32 v17, vcc, s0, v9
	v_add_u32_e32 v15, 40, v23
	v_fma_f32 v4, v18, v19, -v3
	v_mul_f32_e32 v3, v18, v22
	v_addc_co_u32_e32 v18, vcc, v0, v10, vcc
	v_lshlrev_b64 v[9:10], 3, v[13:14]
	v_mad_u64_u32 v[13:14], s[0:1], s16, v15, 0
	v_fmac_f32_e32 v3, v21, v19
	v_add_u32_e32 v19, 0x50, v23
	v_mov_b32_e32 v0, v14
	v_mad_u64_u32 v[14:15], s[0:1], s17, v15, v[0:1]
	v_mad_u64_u32 v[15:16], s[0:1], s16, v19, 0
	v_add_co_u32_e32 v9, vcc, v17, v9
	v_addc_co_u32_e32 v10, vcc, v18, v10, vcc
	global_store_dwordx2 v[9:10], v[3:4], off
	v_lshlrev_b64 v[3:4], 3, v[13:14]
	v_mov_b32_e32 v0, v16
	v_mad_u64_u32 v[9:10], s[0:1], s17, v19, v[0:1]
	v_add_co_u32_e32 v3, vcc, v17, v3
	v_addc_co_u32_e32 v4, vcc, v18, v4, vcc
	global_store_dwordx2 v[3:4], v[11:12], off
	v_add_u32_e32 v11, 0x78, v23
	v_mov_b32_e32 v16, v9
	v_mad_u64_u32 v[9:10], s[0:1], s16, v11, 0
	v_add_u32_e32 v13, 0xa0, v23
	v_lshlrev_b64 v[3:4], 3, v[15:16]
	v_mov_b32_e32 v0, v10
	v_mad_u64_u32 v[10:11], s[0:1], s17, v11, v[0:1]
	v_mad_u64_u32 v[11:12], s[0:1], s16, v13, 0
	v_add_co_u32_e32 v3, vcc, v17, v3
	v_addc_co_u32_e32 v4, vcc, v18, v4, vcc
	v_mov_b32_e32 v0, v12
	global_store_dwordx2 v[3:4], v[7:8], off
	v_mad_u64_u32 v[7:8], s[0:1], s17, v13, v[0:1]
	v_lshlrev_b64 v[3:4], 3, v[9:10]
	v_add_co_u32_e32 v3, vcc, v17, v3
	v_addc_co_u32_e32 v4, vcc, v18, v4, vcc
	v_mov_b32_e32 v12, v7
	global_store_dwordx2 v[3:4], v[5:6], off
	v_lshlrev_b64 v[3:4], 3, v[11:12]
	v_add_co_u32_e32 v3, vcc, v17, v3
	v_addc_co_u32_e32 v4, vcc, v18, v4, vcc
	global_store_dwordx2 v[3:4], v[1:2], off
.LBB0_22:
	s_endpgm
	.section	.rodata,"a",@progbits
	.p2align	6, 0x0
	.amdhsa_kernel fft_rtc_back_len200_factors_5_8_5_wgs_400_tpt_40_sp_op_CI_CI_sbcc_twdbase6_3step_dirReg
		.amdhsa_group_segment_fixed_size 0
		.amdhsa_private_segment_fixed_size 0
		.amdhsa_kernarg_size 112
		.amdhsa_user_sgpr_count 6
		.amdhsa_user_sgpr_private_segment_buffer 1
		.amdhsa_user_sgpr_dispatch_ptr 0
		.amdhsa_user_sgpr_queue_ptr 0
		.amdhsa_user_sgpr_kernarg_segment_ptr 1
		.amdhsa_user_sgpr_dispatch_id 0
		.amdhsa_user_sgpr_flat_scratch_init 0
		.amdhsa_user_sgpr_private_segment_size 0
		.amdhsa_uses_dynamic_stack 0
		.amdhsa_system_sgpr_private_segment_wavefront_offset 0
		.amdhsa_system_sgpr_workgroup_id_x 1
		.amdhsa_system_sgpr_workgroup_id_y 0
		.amdhsa_system_sgpr_workgroup_id_z 0
		.amdhsa_system_sgpr_workgroup_info 0
		.amdhsa_system_vgpr_workitem_id 0
		.amdhsa_next_free_vgpr 42
		.amdhsa_next_free_sgpr 55
		.amdhsa_reserve_vcc 1
		.amdhsa_reserve_flat_scratch 0
		.amdhsa_float_round_mode_32 0
		.amdhsa_float_round_mode_16_64 0
		.amdhsa_float_denorm_mode_32 3
		.amdhsa_float_denorm_mode_16_64 3
		.amdhsa_dx10_clamp 1
		.amdhsa_ieee_mode 1
		.amdhsa_fp16_overflow 0
		.amdhsa_exception_fp_ieee_invalid_op 0
		.amdhsa_exception_fp_denorm_src 0
		.amdhsa_exception_fp_ieee_div_zero 0
		.amdhsa_exception_fp_ieee_overflow 0
		.amdhsa_exception_fp_ieee_underflow 0
		.amdhsa_exception_fp_ieee_inexact 0
		.amdhsa_exception_int_div_zero 0
	.end_amdhsa_kernel
	.text
.Lfunc_end0:
	.size	fft_rtc_back_len200_factors_5_8_5_wgs_400_tpt_40_sp_op_CI_CI_sbcc_twdbase6_3step_dirReg, .Lfunc_end0-fft_rtc_back_len200_factors_5_8_5_wgs_400_tpt_40_sp_op_CI_CI_sbcc_twdbase6_3step_dirReg
                                        ; -- End function
	.section	.AMDGPU.csdata,"",@progbits
; Kernel info:
; codeLenInByte = 4876
; NumSgprs: 59
; NumVgprs: 42
; ScratchSize: 0
; MemoryBound: 0
; FloatMode: 240
; IeeeMode: 1
; LDSByteSize: 0 bytes/workgroup (compile time only)
; SGPRBlocks: 7
; VGPRBlocks: 10
; NumSGPRsForWavesPerEU: 59
; NumVGPRsForWavesPerEU: 42
; Occupancy: 5
; WaveLimiterHint : 1
; COMPUTE_PGM_RSRC2:SCRATCH_EN: 0
; COMPUTE_PGM_RSRC2:USER_SGPR: 6
; COMPUTE_PGM_RSRC2:TRAP_HANDLER: 0
; COMPUTE_PGM_RSRC2:TGID_X_EN: 1
; COMPUTE_PGM_RSRC2:TGID_Y_EN: 0
; COMPUTE_PGM_RSRC2:TGID_Z_EN: 0
; COMPUTE_PGM_RSRC2:TIDIG_COMP_CNT: 0
	.type	__hip_cuid_5611955b29b4dabf,@object ; @__hip_cuid_5611955b29b4dabf
	.section	.bss,"aw",@nobits
	.globl	__hip_cuid_5611955b29b4dabf
__hip_cuid_5611955b29b4dabf:
	.byte	0                               ; 0x0
	.size	__hip_cuid_5611955b29b4dabf, 1

	.ident	"AMD clang version 19.0.0git (https://github.com/RadeonOpenCompute/llvm-project roc-6.4.0 25133 c7fe45cf4b819c5991fe208aaa96edf142730f1d)"
	.section	".note.GNU-stack","",@progbits
	.addrsig
	.addrsig_sym __hip_cuid_5611955b29b4dabf
	.amdgpu_metadata
---
amdhsa.kernels:
  - .args:
      - .actual_access:  read_only
        .address_space:  global
        .offset:         0
        .size:           8
        .value_kind:     global_buffer
      - .address_space:  global
        .offset:         8
        .size:           8
        .value_kind:     global_buffer
      - .offset:         16
        .size:           8
        .value_kind:     by_value
      - .actual_access:  read_only
        .address_space:  global
        .offset:         24
        .size:           8
        .value_kind:     global_buffer
      - .actual_access:  read_only
        .address_space:  global
        .offset:         32
        .size:           8
        .value_kind:     global_buffer
      - .actual_access:  read_only
        .address_space:  global
        .offset:         40
        .size:           8
        .value_kind:     global_buffer
      - .offset:         48
        .size:           8
        .value_kind:     by_value
      - .actual_access:  read_only
        .address_space:  global
        .offset:         56
        .size:           8
        .value_kind:     global_buffer
      - .actual_access:  read_only
        .address_space:  global
        .offset:         64
        .size:           8
        .value_kind:     global_buffer
      - .offset:         72
        .size:           4
        .value_kind:     by_value
      - .actual_access:  read_only
        .address_space:  global
        .offset:         80
        .size:           8
        .value_kind:     global_buffer
      - .actual_access:  read_only
        .address_space:  global
        .offset:         88
        .size:           8
        .value_kind:     global_buffer
      - .actual_access:  read_only
        .address_space:  global
        .offset:         96
        .size:           8
        .value_kind:     global_buffer
      - .actual_access:  write_only
        .address_space:  global
        .offset:         104
        .size:           8
        .value_kind:     global_buffer
    .group_segment_fixed_size: 0
    .kernarg_segment_align: 8
    .kernarg_segment_size: 112
    .language:       OpenCL C
    .language_version:
      - 2
      - 0
    .max_flat_workgroup_size: 400
    .name:           fft_rtc_back_len200_factors_5_8_5_wgs_400_tpt_40_sp_op_CI_CI_sbcc_twdbase6_3step_dirReg
    .private_segment_fixed_size: 0
    .sgpr_count:     59
    .sgpr_spill_count: 0
    .symbol:         fft_rtc_back_len200_factors_5_8_5_wgs_400_tpt_40_sp_op_CI_CI_sbcc_twdbase6_3step_dirReg.kd
    .uniform_work_group_size: 1
    .uses_dynamic_stack: false
    .vgpr_count:     42
    .vgpr_spill_count: 0
    .wavefront_size: 64
amdhsa.target:   amdgcn-amd-amdhsa--gfx906
amdhsa.version:
  - 1
  - 2
...

	.end_amdgpu_metadata
